;; amdgpu-corpus repo=ROCm/rocFFT kind=compiled arch=gfx1201 opt=O3
	.text
	.amdgcn_target "amdgcn-amd-amdhsa--gfx1201"
	.amdhsa_code_object_version 6
	.protected	fft_rtc_back_len1690_factors_13_10_13_wgs_169_tpt_169_dp_op_CI_CI_unitstride_sbrr_dirReg ; -- Begin function fft_rtc_back_len1690_factors_13_10_13_wgs_169_tpt_169_dp_op_CI_CI_unitstride_sbrr_dirReg
	.globl	fft_rtc_back_len1690_factors_13_10_13_wgs_169_tpt_169_dp_op_CI_CI_unitstride_sbrr_dirReg
	.p2align	8
	.type	fft_rtc_back_len1690_factors_13_10_13_wgs_169_tpt_169_dp_op_CI_CI_unitstride_sbrr_dirReg,@function
fft_rtc_back_len1690_factors_13_10_13_wgs_169_tpt_169_dp_op_CI_CI_unitstride_sbrr_dirReg: ; @fft_rtc_back_len1690_factors_13_10_13_wgs_169_tpt_169_dp_op_CI_CI_unitstride_sbrr_dirReg
; %bb.0:
	s_clause 0x2
	s_load_b128 s[8:11], s[0:1], 0x0
	s_load_b128 s[4:7], s[0:1], 0x58
	;; [unrolled: 1-line block ×3, first 2 shown]
	v_mul_u32_u24_e32 v1, 0x184, v0
	v_mov_b32_e32 v3, 0
	s_delay_alu instid0(VALU_DEP_2) | instskip(NEXT) | instid1(VALU_DEP_1)
	v_lshrrev_b32_e32 v1, 16, v1
	v_add_nc_u32_e32 v5, ttmp9, v1
	v_mov_b32_e32 v1, 0
	v_mov_b32_e32 v2, 0
	;; [unrolled: 1-line block ×3, first 2 shown]
	s_wait_kmcnt 0x0
	v_cmp_lt_u64_e64 s2, s[10:11], 2
	s_delay_alu instid0(VALU_DEP_1)
	s_and_b32 vcc_lo, exec_lo, s2
	s_cbranch_vccnz .LBB0_8
; %bb.1:
	s_load_b64 s[2:3], s[0:1], 0x10
	v_mov_b32_e32 v1, 0
	v_mov_b32_e32 v2, 0
	s_add_nc_u64 s[16:17], s[14:15], 8
	s_add_nc_u64 s[18:19], s[12:13], 8
	s_mov_b64 s[20:21], 1
	s_delay_alu instid0(VALU_DEP_1)
	v_dual_mov_b32 v65, v2 :: v_dual_mov_b32 v64, v1
	s_wait_kmcnt 0x0
	s_add_nc_u64 s[22:23], s[2:3], 8
	s_mov_b32 s3, 0
.LBB0_2:                                ; =>This Inner Loop Header: Depth=1
	s_load_b64 s[24:25], s[22:23], 0x0
                                        ; implicit-def: $vgpr66_vgpr67
	s_mov_b32 s2, exec_lo
	s_wait_kmcnt 0x0
	v_or_b32_e32 v4, s25, v6
	s_delay_alu instid0(VALU_DEP_1)
	v_cmpx_ne_u64_e32 0, v[3:4]
	s_wait_alu 0xfffe
	s_xor_b32 s26, exec_lo, s2
	s_cbranch_execz .LBB0_4
; %bb.3:                                ;   in Loop: Header=BB0_2 Depth=1
	s_cvt_f32_u32 s2, s24
	s_cvt_f32_u32 s27, s25
	s_sub_nc_u64 s[30:31], 0, s[24:25]
	s_wait_alu 0xfffe
	s_delay_alu instid0(SALU_CYCLE_1) | instskip(SKIP_1) | instid1(SALU_CYCLE_2)
	s_fmamk_f32 s2, s27, 0x4f800000, s2
	s_wait_alu 0xfffe
	v_s_rcp_f32 s2, s2
	s_delay_alu instid0(TRANS32_DEP_1) | instskip(SKIP_1) | instid1(SALU_CYCLE_2)
	s_mul_f32 s2, s2, 0x5f7ffffc
	s_wait_alu 0xfffe
	s_mul_f32 s27, s2, 0x2f800000
	s_wait_alu 0xfffe
	s_delay_alu instid0(SALU_CYCLE_2) | instskip(SKIP_1) | instid1(SALU_CYCLE_2)
	s_trunc_f32 s27, s27
	s_wait_alu 0xfffe
	s_fmamk_f32 s2, s27, 0xcf800000, s2
	s_cvt_u32_f32 s29, s27
	s_wait_alu 0xfffe
	s_delay_alu instid0(SALU_CYCLE_1) | instskip(SKIP_1) | instid1(SALU_CYCLE_2)
	s_cvt_u32_f32 s28, s2
	s_wait_alu 0xfffe
	s_mul_u64 s[34:35], s[30:31], s[28:29]
	s_wait_alu 0xfffe
	s_mul_hi_u32 s37, s28, s35
	s_mul_i32 s36, s28, s35
	s_mul_hi_u32 s2, s28, s34
	s_mul_i32 s33, s29, s34
	s_wait_alu 0xfffe
	s_add_nc_u64 s[36:37], s[2:3], s[36:37]
	s_mul_hi_u32 s27, s29, s34
	s_mul_hi_u32 s38, s29, s35
	s_add_co_u32 s2, s36, s33
	s_wait_alu 0xfffe
	s_add_co_ci_u32 s2, s37, s27
	s_mul_i32 s34, s29, s35
	s_add_co_ci_u32 s35, s38, 0
	s_wait_alu 0xfffe
	s_add_nc_u64 s[34:35], s[2:3], s[34:35]
	s_wait_alu 0xfffe
	v_add_co_u32 v4, s2, s28, s34
	s_delay_alu instid0(VALU_DEP_1) | instskip(SKIP_1) | instid1(VALU_DEP_1)
	s_cmp_lg_u32 s2, 0
	s_add_co_ci_u32 s29, s29, s35
	v_readfirstlane_b32 s28, v4
	s_wait_alu 0xfffe
	s_delay_alu instid0(VALU_DEP_1)
	s_mul_u64 s[30:31], s[30:31], s[28:29]
	s_wait_alu 0xfffe
	s_mul_hi_u32 s35, s28, s31
	s_mul_i32 s34, s28, s31
	s_mul_hi_u32 s2, s28, s30
	s_mul_i32 s33, s29, s30
	s_wait_alu 0xfffe
	s_add_nc_u64 s[34:35], s[2:3], s[34:35]
	s_mul_hi_u32 s27, s29, s30
	s_mul_hi_u32 s28, s29, s31
	s_wait_alu 0xfffe
	s_add_co_u32 s2, s34, s33
	s_add_co_ci_u32 s2, s35, s27
	s_mul_i32 s30, s29, s31
	s_add_co_ci_u32 s31, s28, 0
	s_wait_alu 0xfffe
	s_add_nc_u64 s[30:31], s[2:3], s[30:31]
	s_wait_alu 0xfffe
	v_add_co_u32 v4, s2, v4, s30
	s_delay_alu instid0(VALU_DEP_1) | instskip(SKIP_1) | instid1(VALU_DEP_1)
	s_cmp_lg_u32 s2, 0
	s_add_co_ci_u32 s2, s29, s31
	v_mul_hi_u32 v13, v5, v4
	s_wait_alu 0xfffe
	v_mad_co_u64_u32 v[7:8], null, v5, s2, 0
	v_mad_co_u64_u32 v[9:10], null, v6, v4, 0
	;; [unrolled: 1-line block ×3, first 2 shown]
	s_delay_alu instid0(VALU_DEP_3) | instskip(SKIP_1) | instid1(VALU_DEP_4)
	v_add_co_u32 v4, vcc_lo, v13, v7
	s_wait_alu 0xfffd
	v_add_co_ci_u32_e32 v7, vcc_lo, 0, v8, vcc_lo
	s_delay_alu instid0(VALU_DEP_2) | instskip(SKIP_1) | instid1(VALU_DEP_2)
	v_add_co_u32 v4, vcc_lo, v4, v9
	s_wait_alu 0xfffd
	v_add_co_ci_u32_e32 v4, vcc_lo, v7, v10, vcc_lo
	s_wait_alu 0xfffd
	v_add_co_ci_u32_e32 v7, vcc_lo, 0, v12, vcc_lo
	s_delay_alu instid0(VALU_DEP_2) | instskip(SKIP_1) | instid1(VALU_DEP_2)
	v_add_co_u32 v4, vcc_lo, v4, v11
	s_wait_alu 0xfffd
	v_add_co_ci_u32_e32 v9, vcc_lo, 0, v7, vcc_lo
	s_delay_alu instid0(VALU_DEP_2) | instskip(SKIP_1) | instid1(VALU_DEP_3)
	v_mul_lo_u32 v10, s25, v4
	v_mad_co_u64_u32 v[7:8], null, s24, v4, 0
	v_mul_lo_u32 v11, s24, v9
	s_delay_alu instid0(VALU_DEP_2) | instskip(NEXT) | instid1(VALU_DEP_2)
	v_sub_co_u32 v7, vcc_lo, v5, v7
	v_add3_u32 v8, v8, v11, v10
	s_delay_alu instid0(VALU_DEP_1) | instskip(SKIP_1) | instid1(VALU_DEP_1)
	v_sub_nc_u32_e32 v10, v6, v8
	s_wait_alu 0xfffd
	v_subrev_co_ci_u32_e64 v10, s2, s25, v10, vcc_lo
	v_add_co_u32 v11, s2, v4, 2
	s_wait_alu 0xf1ff
	v_add_co_ci_u32_e64 v12, s2, 0, v9, s2
	v_sub_co_u32 v13, s2, v7, s24
	v_sub_co_ci_u32_e32 v8, vcc_lo, v6, v8, vcc_lo
	s_wait_alu 0xf1ff
	v_subrev_co_ci_u32_e64 v10, s2, 0, v10, s2
	s_delay_alu instid0(VALU_DEP_3) | instskip(NEXT) | instid1(VALU_DEP_3)
	v_cmp_le_u32_e32 vcc_lo, s24, v13
	v_cmp_eq_u32_e64 s2, s25, v8
	s_wait_alu 0xfffd
	v_cndmask_b32_e64 v13, 0, -1, vcc_lo
	v_cmp_le_u32_e32 vcc_lo, s25, v10
	s_wait_alu 0xfffd
	v_cndmask_b32_e64 v14, 0, -1, vcc_lo
	v_cmp_le_u32_e32 vcc_lo, s24, v7
	;; [unrolled: 3-line block ×3, first 2 shown]
	s_wait_alu 0xfffd
	v_cndmask_b32_e64 v15, 0, -1, vcc_lo
	v_cmp_eq_u32_e32 vcc_lo, s25, v10
	s_wait_alu 0xf1ff
	s_delay_alu instid0(VALU_DEP_2)
	v_cndmask_b32_e64 v7, v15, v7, s2
	s_wait_alu 0xfffd
	v_cndmask_b32_e32 v10, v14, v13, vcc_lo
	v_add_co_u32 v13, vcc_lo, v4, 1
	s_wait_alu 0xfffd
	v_add_co_ci_u32_e32 v14, vcc_lo, 0, v9, vcc_lo
	s_delay_alu instid0(VALU_DEP_3) | instskip(SKIP_1) | instid1(VALU_DEP_2)
	v_cmp_ne_u32_e32 vcc_lo, 0, v10
	s_wait_alu 0xfffd
	v_cndmask_b32_e32 v8, v14, v12, vcc_lo
	v_cndmask_b32_e32 v10, v13, v11, vcc_lo
	v_cmp_ne_u32_e32 vcc_lo, 0, v7
	s_wait_alu 0xfffd
	s_delay_alu instid0(VALU_DEP_2)
	v_dual_cndmask_b32 v67, v9, v8 :: v_dual_cndmask_b32 v66, v4, v10
.LBB0_4:                                ;   in Loop: Header=BB0_2 Depth=1
	s_wait_alu 0xfffe
	s_and_not1_saveexec_b32 s2, s26
	s_cbranch_execz .LBB0_6
; %bb.5:                                ;   in Loop: Header=BB0_2 Depth=1
	v_cvt_f32_u32_e32 v4, s24
	s_sub_co_i32 s26, 0, s24
	v_mov_b32_e32 v67, v3
	s_delay_alu instid0(VALU_DEP_2) | instskip(NEXT) | instid1(TRANS32_DEP_1)
	v_rcp_iflag_f32_e32 v4, v4
	v_mul_f32_e32 v4, 0x4f7ffffe, v4
	s_delay_alu instid0(VALU_DEP_1) | instskip(SKIP_1) | instid1(VALU_DEP_1)
	v_cvt_u32_f32_e32 v4, v4
	s_wait_alu 0xfffe
	v_mul_lo_u32 v7, s26, v4
	s_delay_alu instid0(VALU_DEP_1) | instskip(NEXT) | instid1(VALU_DEP_1)
	v_mul_hi_u32 v7, v4, v7
	v_add_nc_u32_e32 v4, v4, v7
	s_delay_alu instid0(VALU_DEP_1) | instskip(NEXT) | instid1(VALU_DEP_1)
	v_mul_hi_u32 v4, v5, v4
	v_mul_lo_u32 v7, v4, s24
	v_add_nc_u32_e32 v8, 1, v4
	s_delay_alu instid0(VALU_DEP_2) | instskip(NEXT) | instid1(VALU_DEP_1)
	v_sub_nc_u32_e32 v7, v5, v7
	v_subrev_nc_u32_e32 v9, s24, v7
	v_cmp_le_u32_e32 vcc_lo, s24, v7
	s_wait_alu 0xfffd
	s_delay_alu instid0(VALU_DEP_2) | instskip(NEXT) | instid1(VALU_DEP_1)
	v_dual_cndmask_b32 v7, v7, v9 :: v_dual_cndmask_b32 v4, v4, v8
	v_cmp_le_u32_e32 vcc_lo, s24, v7
	s_delay_alu instid0(VALU_DEP_2) | instskip(SKIP_1) | instid1(VALU_DEP_1)
	v_add_nc_u32_e32 v8, 1, v4
	s_wait_alu 0xfffd
	v_cndmask_b32_e32 v66, v4, v8, vcc_lo
.LBB0_6:                                ;   in Loop: Header=BB0_2 Depth=1
	s_wait_alu 0xfffe
	s_or_b32 exec_lo, exec_lo, s2
	v_mul_lo_u32 v4, v67, s24
	s_delay_alu instid0(VALU_DEP_2)
	v_mul_lo_u32 v9, v66, s25
	s_load_b64 s[26:27], s[18:19], 0x0
	v_mad_co_u64_u32 v[7:8], null, v66, s24, 0
	s_load_b64 s[24:25], s[16:17], 0x0
	s_add_nc_u64 s[20:21], s[20:21], 1
	s_add_nc_u64 s[16:17], s[16:17], 8
	s_wait_alu 0xfffe
	v_cmp_ge_u64_e64 s2, s[20:21], s[10:11]
	s_add_nc_u64 s[18:19], s[18:19], 8
	s_add_nc_u64 s[22:23], s[22:23], 8
	v_add3_u32 v4, v8, v9, v4
	v_sub_co_u32 v5, vcc_lo, v5, v7
	s_wait_alu 0xfffd
	s_delay_alu instid0(VALU_DEP_2) | instskip(SKIP_2) | instid1(VALU_DEP_1)
	v_sub_co_ci_u32_e32 v4, vcc_lo, v6, v4, vcc_lo
	s_and_b32 vcc_lo, exec_lo, s2
	s_wait_kmcnt 0x0
	v_mul_lo_u32 v6, s26, v4
	v_mul_lo_u32 v7, s27, v5
	v_mad_co_u64_u32 v[1:2], null, s26, v5, v[1:2]
	v_mul_lo_u32 v4, s24, v4
	v_mul_lo_u32 v8, s25, v5
	v_mad_co_u64_u32 v[64:65], null, s24, v5, v[64:65]
	s_delay_alu instid0(VALU_DEP_4) | instskip(NEXT) | instid1(VALU_DEP_2)
	v_add3_u32 v2, v7, v2, v6
	v_add3_u32 v65, v8, v65, v4
	s_wait_alu 0xfffe
	s_cbranch_vccnz .LBB0_9
; %bb.7:                                ;   in Loop: Header=BB0_2 Depth=1
	v_dual_mov_b32 v5, v66 :: v_dual_mov_b32 v6, v67
	s_branch .LBB0_2
.LBB0_8:
	v_dual_mov_b32 v65, v2 :: v_dual_mov_b32 v64, v1
	v_dual_mov_b32 v67, v6 :: v_dual_mov_b32 v66, v5
.LBB0_9:
	s_load_b64 s[0:1], s[0:1], 0x28
	v_mul_hi_u32 v3, 0x183c978, v0
	s_lshl_b64 s[10:11], s[10:11], 3
                                        ; implicit-def: $vgpr14_vgpr15
                                        ; implicit-def: $vgpr18_vgpr19
                                        ; implicit-def: $vgpr22_vgpr23
                                        ; implicit-def: $vgpr26_vgpr27
                                        ; implicit-def: $vgpr30_vgpr31
                                        ; implicit-def: $vgpr38_vgpr39
                                        ; implicit-def: $vgpr42_vgpr43
                                        ; implicit-def: $vgpr46_vgpr47
                                        ; implicit-def: $vgpr62_vgpr63
                                        ; implicit-def: $vgpr58_vgpr59
                                        ; implicit-def: $vgpr54_vgpr55
                                        ; implicit-def: $vgpr50_vgpr51
                                        ; implicit-def: $vgpr34_vgpr35
	s_delay_alu instid0(VALU_DEP_1) | instskip(NEXT) | instid1(VALU_DEP_1)
	v_mul_u32_u24_e32 v3, 0xa9, v3
	v_sub_nc_u32_e32 v68, v0, v3
	s_delay_alu instid0(VALU_DEP_1) | instskip(SKIP_2) | instid1(VALU_DEP_1)
	v_cmp_gt_u32_e32 vcc_lo, 0x82, v68
	s_wait_kmcnt 0x0
	v_cmp_gt_u64_e64 s0, s[0:1], v[66:67]
	s_and_b32 s33, s0, vcc_lo
	s_delay_alu instid0(SALU_CYCLE_1)
	s_and_saveexec_b32 s1, s33
	s_cbranch_execz .LBB0_11
; %bb.10:
	s_wait_alu 0xfffe
	s_add_nc_u64 s[2:3], s[12:13], s[10:11]
	v_mov_b32_e32 v69, 0
	s_load_b64 s[2:3], s[2:3], 0x0
	s_wait_kmcnt 0x0
	v_mul_lo_u32 v0, s3, v66
	v_mul_lo_u32 v5, s2, v67
	v_mad_co_u64_u32 v[3:4], null, s2, v66, 0
	s_delay_alu instid0(VALU_DEP_1) | instskip(SKIP_1) | instid1(VALU_DEP_2)
	v_add3_u32 v4, v4, v5, v0
	v_lshlrev_b64_e32 v[0:1], 4, v[1:2]
	v_lshlrev_b64_e32 v[3:4], 4, v[3:4]
	s_delay_alu instid0(VALU_DEP_1) | instskip(SKIP_1) | instid1(VALU_DEP_2)
	v_add_co_u32 v5, s0, s4, v3
	s_wait_alu 0xf1ff
	v_add_co_ci_u32_e64 v4, s0, s5, v4, s0
	v_lshlrev_b64_e32 v[2:3], 4, v[68:69]
	s_delay_alu instid0(VALU_DEP_3) | instskip(SKIP_1) | instid1(VALU_DEP_3)
	v_add_co_u32 v0, s0, v5, v0
	s_wait_alu 0xf1ff
	v_add_co_ci_u32_e64 v1, s0, v4, v1, s0
	s_delay_alu instid0(VALU_DEP_2) | instskip(SKIP_1) | instid1(VALU_DEP_2)
	v_add_co_u32 v0, s0, v0, v2
	s_wait_alu 0xf1ff
	v_add_co_ci_u32_e64 v1, s0, v1, v3, s0
	s_clause 0xc
	global_load_b128 v[32:35], v[0:1], off
	global_load_b128 v[48:51], v[0:1], off offset:2080
	global_load_b128 v[52:55], v[0:1], off offset:4160
	global_load_b128 v[56:59], v[0:1], off offset:6240
	global_load_b128 v[60:63], v[0:1], off offset:8320
	global_load_b128 v[44:47], v[0:1], off offset:10400
	global_load_b128 v[40:43], v[0:1], off offset:12480
	global_load_b128 v[36:39], v[0:1], off offset:14560
	global_load_b128 v[28:31], v[0:1], off offset:16640
	global_load_b128 v[24:27], v[0:1], off offset:18720
	global_load_b128 v[20:23], v[0:1], off offset:20800
	global_load_b128 v[16:19], v[0:1], off offset:22880
	global_load_b128 v[12:15], v[0:1], off offset:24960
.LBB0_11:
	s_wait_alu 0xfffe
	s_or_b32 exec_lo, exec_lo, s1
	s_wait_loadcnt 0x0
	v_add_f64_e64 v[71:72], v[50:51], -v[14:15]
	v_add_f64_e64 v[85:86], v[48:49], -v[12:13]
	s_mov_b32 s0, 0x4267c47c
	s_mov_b32 s2, 0x42a4c3d2
	;; [unrolled: 1-line block ×6, first 2 shown]
	v_add_f64_e32 v[83:84], v[12:13], v[48:49]
	v_add_f64_e64 v[69:70], v[54:55], -v[18:19]
	v_add_f64_e32 v[75:76], v[14:15], v[50:51]
	v_add_f64_e64 v[73:74], v[52:53], -v[16:17]
	s_mov_b32 s24, 0xe00740e9
	s_mov_b32 s12, 0x1ea71119
	;; [unrolled: 1-line block ×10, first 2 shown]
	v_add_f64_e32 v[177:178], v[16:17], v[52:53]
	v_add_f64_e64 v[155:156], v[58:59], -v[22:23]
	v_add_f64_e32 v[137:138], v[18:19], v[54:55]
	v_add_f64_e64 v[187:188], v[56:57], -v[20:21]
	s_mov_b32 s20, 0xb2365da1
	s_mov_b32 s28, 0x93053d00
	;; [unrolled: 1-line block ×6, first 2 shown]
	v_add_f64_e32 v[183:184], v[20:21], v[56:57]
	v_add_f64_e32 v[145:146], v[22:23], v[58:59]
	v_add_f64_e64 v[89:90], v[62:63], -v[26:27]
	v_add_f64_e64 v[127:128], v[60:61], -v[24:25]
	s_mov_b32 s38, 0x24c2f84
	s_mov_b32 s39, 0x3fe5384d
	s_wait_alu 0xfffe
	v_mul_f64_e32 v[77:78], s[0:1], v[71:72]
	v_mul_f64_e32 v[79:80], s[0:1], v[85:86]
	;; [unrolled: 1-line block ×6, first 2 shown]
	s_mov_b32 s35, 0x3fddbe06
	s_mov_b32 s34, s0
	v_add_f64_e32 v[185:186], v[24:25], v[60:61]
	v_mul_f64_e32 v[135:136], s[2:3], v[69:70]
	v_mul_f64_e32 v[143:144], s[16:17], v[69:70]
	;; [unrolled: 1-line block ×6, first 2 shown]
	v_add_f64_e32 v[105:106], v[26:27], v[62:63]
	v_add_f64_e64 v[87:88], v[46:47], -v[30:31]
	v_add_f64_e64 v[141:142], v[44:45], -v[28:29]
	s_mov_b32 s36, 0xd0032e0c
	s_mov_b32 s37, 0xbfe7f3cc
	;; [unrolled: 1-line block ×5, first 2 shown]
	v_mul_f64_e32 v[147:148], s[4:5], v[155:156]
	v_mul_f64_e32 v[161:162], s[26:27], v[155:156]
	;; [unrolled: 1-line block ×6, first 2 shown]
	s_mov_b32 s30, s4
	v_add_f64_e32 v[175:176], v[28:29], v[44:45]
	v_add_f64_e64 v[159:160], v[40:41], -v[36:37]
	s_add_nc_u64 s[10:11], s[14:15], s[10:11]
	v_mul_f64_e32 v[117:118], s[16:17], v[89:90]
	v_mul_f64_e32 v[121:122], s[16:17], v[127:128]
	;; [unrolled: 1-line block ×4, first 2 shown]
	v_fma_f64 v[0:1], v[83:84], s[24:25], -v[77:78]
	v_fma_f64 v[2:3], v[75:76], s[24:25], v[79:80]
	v_fma_f64 v[4:5], v[83:84], s[12:13], -v[165:166]
	v_fma_f64 v[6:7], v[75:76], s[12:13], v[169:170]
	;; [unrolled: 2-line block ×3, first 2 shown]
	s_wait_alu 0xfffe
	v_mul_f64_e32 v[131:132], s[34:35], v[89:90]
	v_mul_f64_e32 v[133:134], s[34:35], v[127:128]
	v_fma_f64 v[81:82], v[177:178], s[12:13], -v[135:136]
	v_fma_f64 v[93:94], v[177:178], s[20:21], -v[143:144]
	v_fma_f64 v[91:92], v[137:138], s[12:13], v[139:140]
	v_fma_f64 v[95:96], v[137:138], s[20:21], v[149:150]
	v_fma_f64 v[97:98], v[177:178], s[28:29], -v[153:154]
	v_fma_f64 v[99:100], v[137:138], s[28:29], v[157:158]
	v_mul_f64_e32 v[107:108], s[40:41], v[87:88]
	v_mul_f64_e32 v[111:112], s[40:41], v[141:142]
	;; [unrolled: 1-line block ×6, first 2 shown]
	v_fma_f64 v[101:102], v[183:184], s[18:19], -v[147:148]
	v_fma_f64 v[109:110], v[183:184], s[28:29], -v[161:162]
	v_fma_f64 v[103:104], v[145:146], s[18:19], v[151:152]
	v_fma_f64 v[173:174], v[145:146], s[28:29], v[163:164]
	v_fma_f64 v[189:190], v[183:184], s[20:21], -v[167:168]
	v_fma_f64 v[191:192], v[145:146], s[20:21], v[171:172]
	v_fma_f64 v[193:194], v[185:186], s[20:21], -v[117:118]
	;; [unrolled: 2-line block ×3, first 2 shown]
	v_fma_f64 v[199:200], v[105:106], s[36:37], v[129:130]
	v_add_f64_e32 v[0:1], v[32:33], v[0:1]
	v_add_f64_e32 v[2:3], v[34:35], v[2:3]
	;; [unrolled: 1-line block ×6, first 2 shown]
	v_fma_f64 v[201:202], v[185:186], s[24:25], -v[131:132]
	v_fma_f64 v[203:204], v[105:106], s[24:25], v[133:134]
	v_fma_f64 v[205:206], v[175:176], s[18:19], -v[113:114]
	v_fma_f64 v[209:210], v[175:176], s[12:13], -v[119:120]
	v_add_f64_e32 v[0:1], v[81:82], v[0:1]
	v_add_f64_e32 v[2:3], v[91:92], v[2:3]
	;; [unrolled: 1-line block ×7, first 2 shown]
	v_add_f64_e64 v[81:82], v[42:43], -v[38:39]
	v_add_f64_e32 v[91:92], v[38:39], v[42:43]
	v_mul_f64_e32 v[95:96], s[26:27], v[159:160]
	v_add_f64_e32 v[0:1], v[101:102], v[0:1]
	v_add_f64_e32 v[2:3], v[103:104], v[2:3]
	;; [unrolled: 1-line block ×7, first 2 shown]
	v_mul_f64_e32 v[93:94], s[26:27], v[81:82]
	v_mul_f64_e32 v[97:98], s[34:35], v[81:82]
	;; [unrolled: 1-line block ×5, first 2 shown]
	v_fma_f64 v[189:190], v[175:176], s[36:37], -v[107:108]
	v_fma_f64 v[191:192], v[99:100], s[36:37], v[111:112]
	v_fma_f64 v[207:208], v[99:100], s[18:19], v[115:116]
	;; [unrolled: 1-line block ×3, first 2 shown]
	v_add_f64_e32 v[0:1], v[193:194], v[0:1]
	v_add_f64_e32 v[2:3], v[195:196], v[2:3]
	;; [unrolled: 1-line block ×6, first 2 shown]
	v_fma_f64 v[195:196], v[91:92], s[28:29], v[95:96]
	v_fma_f64 v[193:194], v[173:174], s[28:29], -v[93:94]
	v_fma_f64 v[197:198], v[173:174], s[24:25], -v[97:98]
	v_fma_f64 v[199:200], v[91:92], s[24:25], v[101:102]
	v_fma_f64 v[201:202], v[173:174], s[36:37], -v[103:104]
	v_fma_f64 v[203:204], v[91:92], s[36:37], v[109:110]
	v_add_f64_e32 v[0:1], v[189:190], v[0:1]
	v_add_f64_e32 v[2:3], v[191:192], v[2:3]
	v_add_f64_e32 v[4:5], v[205:206], v[4:5]
	v_add_f64_e32 v[6:7], v[207:208], v[6:7]
	v_add_f64_e32 v[189:190], v[209:210], v[8:9]
	v_add_f64_e32 v[191:192], v[211:212], v[10:11]
	v_add_f64_e32 v[8:9], v[193:194], v[0:1]
	v_add_f64_e32 v[10:11], v[195:196], v[2:3]
	v_add_f64_e32 v[4:5], v[197:198], v[4:5]
	v_add_f64_e32 v[6:7], v[199:200], v[6:7]
	v_add_f64_e32 v[0:1], v[201:202], v[189:190]
	v_add_f64_e32 v[2:3], v[203:204], v[191:192]
	s_and_saveexec_b32 s44, vcc_lo
	s_cbranch_execz .LBB0_13
; %bb.12:
	v_add_f64_e32 v[50:51], v[50:51], v[34:35]
	v_add_f64_e32 v[48:49], v[48:49], v[32:33]
	v_mul_f64_e32 v[189:190], s[18:19], v[83:84]
	v_mul_f64_e32 v[191:192], s[12:13], v[75:76]
	;; [unrolled: 1-line block ×4, first 2 shown]
	s_mov_b32 s43, 0x3fcea1e5
	s_mov_b32 s42, s26
	v_mul_f64_e32 v[199:200], s[36:37], v[183:184]
	v_mul_f64_e32 v[201:202], s[24:25], v[177:178]
	;; [unrolled: 1-line block ×8, first 2 shown]
	s_mov_b32 s15, 0x3fea55e2
	s_mov_b32 s14, s2
	v_mul_f64_e32 v[223:224], s[28:29], v[145:146]
	v_mul_f64_e32 v[227:228], s[40:41], v[187:188]
	;; [unrolled: 1-line block ×14, first 2 shown]
	v_add_f64_e32 v[50:51], v[54:55], v[50:51]
	v_add_f64_e32 v[48:49], v[52:53], v[48:49]
	v_mul_f64_e32 v[52:53], s[26:27], v[85:86]
	v_mul_f64_e32 v[54:55], s[28:29], v[83:84]
	v_add_f64_e32 v[165:166], v[165:166], v[193:194]
	v_add_f64_e64 v[79:80], v[195:196], -v[79:80]
	v_mul_f64_e32 v[193:194], s[18:19], v[175:176]
	v_mul_f64_e32 v[195:196], s[18:19], v[99:100]
	v_fma_f64 v[251:252], v[155:156], s[38:39], v[199:200]
	v_fma_f64 v[253:254], v[69:70], s[0:1], v[201:202]
	;; [unrolled: 1-line block ×4, first 2 shown]
	v_add_f64_e64 v[157:158], v[203:204], -v[157:158]
	v_add_f64_e64 v[149:150], v[229:230], -v[149:150]
	v_add_f64_e32 v[143:144], v[143:144], v[235:236]
	v_add_f64_e32 v[153:154], v[153:154], v[221:222]
	v_mul_f64_e32 v[235:236], s[16:17], v[141:142]
	v_mul_f64_e32 v[221:222], s[28:29], v[91:92]
	v_add_f64_e64 v[163:164], v[223:224], -v[163:164]
	v_mul_f64_e32 v[223:224], s[24:25], v[173:174]
	v_add_f64_e32 v[161:162], v[161:162], v[233:234]
	v_mul_f64_e32 v[233:234], s[24:25], v[91:92]
	v_add_f64_e32 v[167:168], v[167:168], v[211:212]
	v_add_f64_e64 v[171:172], v[213:214], -v[171:172]
	v_add_f64_e64 v[151:152], v[237:238], -v[151:152]
	v_mul_f64_e32 v[237:238], s[34:35], v[141:142]
	v_mul_f64_e32 v[141:142], s[42:43], v[141:142]
	v_add_f64_e64 v[129:130], v[225:226], -v[129:130]
	v_mul_f64_e32 v[213:214], s[12:13], v[99:100]
	v_add_f64_e64 v[133:134], v[219:220], -v[133:134]
	v_add_f64_e32 v[131:132], v[131:132], v[215:216]
	v_mul_f64_e32 v[211:212], s[28:29], v[173:174]
	v_add_f64_e32 v[50:51], v[58:59], v[50:51]
	v_add_f64_e32 v[48:49], v[56:57], v[48:49]
	v_mul_f64_e32 v[56:57], s[40:41], v[85:86]
	v_mul_f64_e32 v[58:59], s[36:37], v[83:84]
	v_fma_f64 v[239:240], v[75:76], s[28:29], v[52:53]
	v_fma_f64 v[241:242], v[71:72], s[42:43], v[54:55]
	v_fma_f64 v[52:53], v[75:76], s[28:29], -v[52:53]
	v_fma_f64 v[54:55], v[71:72], s[26:27], v[54:55]
	v_add_f64_e32 v[165:166], v[32:33], v[165:166]
	v_add_f64_e64 v[115:116], v[195:196], -v[115:116]
	v_add_f64_e32 v[113:114], v[113:114], v[193:194]
	v_add_f64_e64 v[95:96], v[221:222], -v[95:96]
	;; [unrolled: 2-line block ×3, first 2 shown]
	v_add_f64_e64 v[123:124], v[213:214], -v[123:124]
	v_add_f64_e32 v[93:94], v[93:94], v[211:212]
	v_add_f64_e32 v[50:51], v[62:63], v[50:51]
	;; [unrolled: 1-line block ×3, first 2 shown]
	v_mul_f64_e32 v[60:61], s[16:17], v[85:86]
	v_mul_f64_e32 v[62:63], s[20:21], v[83:84]
	;; [unrolled: 1-line block ×4, first 2 shown]
	v_fma_f64 v[243:244], v[75:76], s[36:37], v[56:57]
	v_fma_f64 v[245:246], v[71:72], s[38:39], v[58:59]
	v_fma_f64 v[56:57], v[75:76], s[36:37], -v[56:57]
	v_fma_f64 v[58:59], v[71:72], s[40:41], v[58:59]
	v_add_f64_e32 v[239:240], v[34:35], v[239:240]
	v_add_f64_e32 v[241:242], v[32:33], v[241:242]
	;; [unrolled: 1-line block ×7, first 2 shown]
	v_mul_f64_e32 v[48:49], s[24:25], v[183:184]
	v_mul_f64_e32 v[50:51], s[36:37], v[177:178]
	v_fma_f64 v[247:248], v[75:76], s[20:21], v[60:61]
	v_fma_f64 v[249:250], v[71:72], s[22:23], v[62:63]
	v_fma_f64 v[60:61], v[75:76], s[20:21], -v[60:61]
	v_fma_f64 v[62:63], v[71:72], s[16:17], v[62:63]
	v_add_f64_e64 v[71:72], v[85:86], -v[181:182]
	v_add_f64_e32 v[75:76], v[179:180], v[189:190]
	v_add_f64_e64 v[85:86], v[191:192], -v[169:170]
	v_add_f64_e32 v[77:78], v[77:78], v[83:84]
	v_mul_f64_e32 v[83:84], s[34:35], v[73:74]
	v_mul_f64_e32 v[169:170], s[30:31], v[73:74]
	;; [unrolled: 1-line block ×4, first 2 shown]
	v_add_f64_e32 v[243:244], v[34:35], v[243:244]
	v_add_f64_e32 v[245:246], v[32:33], v[245:246]
	;; [unrolled: 1-line block ×4, first 2 shown]
	v_mul_f64_e32 v[181:182], s[36:37], v[185:186]
	v_add_f64_e32 v[241:242], v[253:254], v[241:242]
	v_add_f64_e32 v[54:55], v[201:202], v[54:55]
	v_mul_f64_e32 v[201:202], s[14:15], v[127:128]
	v_mul_f64_e32 v[189:190], s[36:37], v[175:176]
	;; [unrolled: 1-line block ×4, first 2 shown]
	v_add_f64_e32 v[42:43], v[42:43], v[46:47]
	v_add_f64_e32 v[40:41], v[40:41], v[44:45]
	v_mul_f64_e32 v[46:47], s[12:13], v[177:178]
	v_mul_f64_e32 v[44:45], s[18:19], v[183:184]
	v_add_f64_e32 v[247:248], v[34:35], v[247:248]
	v_add_f64_e32 v[249:250], v[32:33], v[249:250]
	;; [unrolled: 1-line block ×9, first 2 shown]
	v_fma_f64 v[77:78], v[155:156], s[14:15], v[207:208]
	v_fma_f64 v[79:80], v[69:70], s[4:5], v[209:210]
	;; [unrolled: 1-line block ×5, first 2 shown]
	v_fma_f64 v[169:170], v[137:138], s[18:19], -v[169:170]
	v_fma_f64 v[229:230], v[137:138], s[36:37], -v[73:74]
	v_fma_f64 v[73:74], v[137:138], s[36:37], v[73:74]
	v_add_f64_e64 v[139:140], v[179:180], -v[139:140]
	v_mul_f64_e32 v[177:178], s[20:21], v[185:186]
	v_mul_f64_e32 v[183:184], s[4:5], v[127:128]
	v_fma_f64 v[179:180], v[145:146], s[12:13], v[231:232]
	v_fma_f64 v[231:232], v[145:146], s[12:13], -v[231:232]
	v_mul_f64_e32 v[127:128], s[42:43], v[127:128]
	v_mul_f64_e32 v[185:186], s[20:21], v[105:106]
	v_add_f64_e32 v[125:126], v[125:126], v[181:182]
	v_fma_f64 v[165:166], v[105:106], s[12:13], -v[201:202]
	v_add_f64_e32 v[54:55], v[199:200], v[54:55]
	v_add_f64_e64 v[111:112], v[191:192], -v[111:112]
	v_add_f64_e32 v[107:108], v[107:108], v[189:190]
	v_add_f64_e64 v[109:110], v[253:254], -v[109:110]
	v_add_f64_e32 v[38:39], v[38:39], v[42:43]
	v_add_f64_e32 v[36:37], v[36:37], v[40:41]
	v_fma_f64 v[40:41], v[155:156], s[0:1], v[48:49]
	v_fma_f64 v[42:43], v[137:138], s[24:25], v[83:84]
	;; [unrolled: 1-line block ×5, first 2 shown]
	v_fma_f64 v[69:70], v[137:138], s[24:25], -v[83:84]
	v_add_f64_e32 v[46:47], v[135:136], v[46:47]
	v_fma_f64 v[137:138], v[145:146], s[36:37], v[227:228]
	v_fma_f64 v[227:228], v[145:146], s[36:37], -v[227:228]
	v_fma_f64 v[135:136], v[145:146], s[24:25], v[187:188]
	v_fma_f64 v[145:146], v[145:146], s[24:25], -v[187:188]
	v_add_f64_e32 v[85:86], v[149:150], v[85:86]
	v_add_f64_e32 v[79:80], v[79:80], v[245:246]
	;; [unrolled: 1-line block ×10, first 2 shown]
	v_mul_f64_e32 v[83:84], s[12:13], v[175:176]
	v_mul_f64_e32 v[187:188], s[20:21], v[175:176]
	;; [unrolled: 1-line block ×3, first 2 shown]
	v_fma_f64 v[153:154], v[105:106], s[18:19], v[183:184]
	v_add_f64_e32 v[117:118], v[117:118], v[177:178]
	v_fma_f64 v[157:158], v[105:106], s[12:13], v[201:202]
	v_fma_f64 v[177:178], v[105:106], s[28:29], v[127:128]
	v_mul_f64_e32 v[175:176], s[28:29], v[175:176]
	v_fma_f64 v[139:140], v[89:90], s[42:43], v[205:206]
	v_fma_f64 v[149:150], v[89:90], s[30:31], v[217:218]
	v_add_f64_e64 v[121:122], v[185:186], -v[121:122]
	v_mul_f64_e32 v[245:246], s[16:17], v[159:160]
	v_mul_f64_e32 v[243:244], s[18:19], v[173:174]
	;; [unrolled: 1-line block ×3, first 2 shown]
	v_add_f64_e32 v[30:31], v[30:31], v[38:39]
	v_add_f64_e32 v[28:29], v[28:29], v[36:37]
	v_fma_f64 v[36:37], v[89:90], s[2:3], v[197:198]
	v_add_f64_e32 v[42:43], v[42:43], v[239:240]
	v_fma_f64 v[38:39], v[89:90], s[14:15], v[197:198]
	v_mul_f64_e32 v[239:240], s[36:37], v[173:174]
	v_add_f64_e32 v[50:51], v[50:51], v[62:63]
	v_add_f64_e32 v[52:53], v[69:70], v[52:53]
	;; [unrolled: 1-line block ×5, first 2 shown]
	v_fma_f64 v[46:47], v[89:90], s[26:27], v[205:206]
	v_fma_f64 v[155:156], v[105:106], s[18:19], -v[183:184]
	v_fma_f64 v[105:106], v[105:106], s[28:29], -v[127:128]
	v_add_f64_e32 v[127:128], v[251:252], v[241:242]
	v_add_f64_e32 v[77:78], v[77:78], v[79:80]
	;; [unrolled: 1-line block ×8, first 2 shown]
	v_fma_f64 v[89:90], v[89:90], s[4:5], v[217:218]
	v_add_f64_e32 v[34:35], v[151:152], v[34:35]
	v_mul_f64_e32 v[69:70], s[30:31], v[159:160]
	v_fma_f64 v[143:144], v[99:100], s[24:25], -v[237:238]
	v_add_f64_e32 v[83:84], v[119:120], v[83:84]
	v_fma_f64 v[119:120], v[99:100], s[28:29], v[141:142]
	v_mul_f64_e32 v[173:174], s[12:13], v[173:174]
	v_mul_f64_e32 v[159:160], s[14:15], v[159:160]
	v_fma_f64 v[145:146], v[87:88], s[34:35], v[147:148]
	v_add_f64_e32 v[26:27], v[26:27], v[30:31]
	v_add_f64_e32 v[24:25], v[24:25], v[28:29]
	v_fma_f64 v[30:31], v[99:100], s[20:21], v[235:236]
	v_add_f64_e32 v[42:43], v[137:138], v[42:43]
	v_add_f64_e32 v[137:138], v[179:180], v[203:204]
	;; [unrolled: 1-line block ×9, first 2 shown]
	v_fma_f64 v[32:33], v[87:88], s[22:23], v[187:188]
	v_fma_f64 v[44:45], v[99:100], s[20:21], -v[235:236]
	v_fma_f64 v[73:74], v[99:100], s[24:25], v[237:238]
	v_fma_f64 v[135:136], v[87:88], s[0:1], v[147:148]
	v_fma_f64 v[99:100], v[99:100], s[28:29], -v[141:142]
	v_add_f64_e32 v[36:37], v[36:37], v[127:128]
	v_add_f64_e32 v[46:47], v[46:47], v[77:78]
	;; [unrolled: 1-line block ×6, first 2 shown]
	v_fma_f64 v[62:63], v[87:88], s[16:17], v[187:188]
	v_add_f64_e32 v[71:72], v[133:134], v[71:72]
	v_add_f64_e32 v[75:76], v[131:132], v[75:76]
	v_fma_f64 v[147:148], v[87:88], s[26:27], v[175:176]
	v_fma_f64 v[87:88], v[87:88], s[42:43], v[175:176]
	v_add_f64_e32 v[34:35], v[121:122], v[34:35]
	v_fma_f64 v[85:86], v[81:82], s[30:31], v[243:244]
	v_add_f64_e32 v[103:104], v[103:104], v[239:240]
	v_fma_f64 v[105:106], v[81:82], s[22:23], v[169:170]
	v_fma_f64 v[121:122], v[81:82], s[16:17], v[169:170]
	;; [unrolled: 1-line block ×4, first 2 shown]
	v_add_f64_e32 v[22:23], v[22:23], v[26:27]
	v_add_f64_e32 v[20:21], v[20:21], v[24:25]
	v_fma_f64 v[26:27], v[91:92], s[18:19], v[69:70]
	v_add_f64_e32 v[42:43], v[157:158], v[42:43]
	v_add_f64_e32 v[54:55], v[177:178], v[137:138]
	v_fma_f64 v[69:70], v[91:92], s[18:19], -v[69:70]
	v_add_f64_e32 v[48:49], v[89:90], v[48:49]
	v_add_f64_e32 v[52:53], v[165:166], v[52:53]
	;; [unrolled: 1-line block ×6, first 2 shown]
	v_fma_f64 v[89:90], v[91:92], s[20:21], v[245:246]
	v_fma_f64 v[28:29], v[81:82], s[4:5], v[243:244]
	v_fma_f64 v[117:118], v[91:92], s[20:21], -v[245:246]
	v_fma_f64 v[81:82], v[81:82], s[14:15], v[173:174]
	v_fma_f64 v[91:92], v[91:92], s[12:13], -v[159:160]
	v_add_f64_e32 v[32:33], v[32:33], v[36:37]
	v_add_f64_e32 v[38:39], v[62:63], v[38:39]
	;; [unrolled: 1-line block ×40, first 2 shown]
	v_mad_u32_u24 v52, 0xd0, v68, 0
	ds_store_b128 v52, v[0:3] offset:160
	ds_store_b128 v52, v[4:7] offset:176
	ds_store_b128 v52, v[40:43] offset:32
	ds_store_b128 v52, v[36:39] offset:48
	ds_store_b128 v52, v[32:35] offset:64
	ds_store_b128 v52, v[28:31] offset:80
	ds_store_b128 v52, v[20:23] offset:96
	ds_store_b128 v52, v[16:19] offset:112
	ds_store_b128 v52, v[24:27] offset:128
	ds_store_b128 v52, v[44:47] offset:144
	ds_store_b128 v52, v[12:15]
	ds_store_b128 v52, v[48:51] offset:16
	ds_store_b128 v52, v[8:11] offset:192
.LBB0_13:
	s_or_b32 exec_lo, exec_lo, s44
	v_and_b32_e32 v12, 0xff, v68
	s_load_b64 s[0:1], s[10:11], 0x0
	global_wb scope:SCOPE_SE
	s_wait_dscnt 0x0
	s_wait_kmcnt 0x0
	s_barrier_signal -1
	s_barrier_wait -1
	v_mul_lo_u16 v12, 0x4f, v12
	global_inv scope:SCOPE_SE
	v_lshl_add_u32 v52, v68, 4, 0
	s_mov_b32 s10, 0x134454ff
	s_mov_b32 s11, 0xbfee6f0e
	v_lshrrev_b16 v53, 10, v12
	s_mov_b32 s3, 0x3fee6f0e
	s_wait_alu 0xfffe
	s_mov_b32 s2, s10
	s_mov_b32 s14, 0x4755a5e
	;; [unrolled: 1-line block ×3, first 2 shown]
	v_mul_lo_u16 v12, v53, 13
	s_mov_b32 s5, 0x3fe2cf23
	s_wait_alu 0xfffe
	s_mov_b32 s4, s14
	s_mov_b32 s12, 0x372fe950
	s_mov_b32 s13, 0x3fd3c6ef
	v_sub_nc_u16 v12, v68, v12
	s_mov_b32 s16, 0x9b97f4a8
	s_mov_b32 s17, 0x3fe9e377
	;; [unrolled: 1-line block ×4, first 2 shown]
	v_and_b32_e32 v54, 0xff, v12
	s_wait_alu 0xfffe
	s_mov_b32 s18, s12
	s_mov_b32 s20, s16
	v_and_b32_e32 v53, 0xffff, v53
	v_mul_u32_u24_e32 v12, 9, v54
	v_lshlrev_b32_e32 v54, 4, v54
	s_delay_alu instid0(VALU_DEP_3) | instskip(NEXT) | instid1(VALU_DEP_3)
	v_mul_u32_u24_e32 v53, 0x820, v53
	v_lshlrev_b32_e32 v44, 4, v12
	s_clause 0x8
	global_load_b128 v[12:15], v44, s[8:9] offset:32
	global_load_b128 v[16:19], v44, s[8:9] offset:64
	global_load_b128 v[20:23], v44, s[8:9] offset:96
	global_load_b128 v[24:27], v44, s[8:9] offset:128
	global_load_b128 v[28:31], v44, s[8:9]
	global_load_b128 v[32:35], v44, s[8:9] offset:16
	global_load_b128 v[36:39], v44, s[8:9] offset:48
	;; [unrolled: 1-line block ×4, first 2 shown]
	ds_load_b128 v[48:51], v52 offset:8112
	ds_load_b128 v[55:58], v52 offset:13520
	;; [unrolled: 1-line block ×6, first 2 shown]
	v_add3_u32 v53, 0, v53, v54
	s_wait_loadcnt_dscnt 0x805
	v_mul_f64_e32 v[81:82], v[48:49], v[14:15]
	s_wait_loadcnt_dscnt 0x704
	v_mul_f64_e32 v[83:84], v[55:56], v[18:19]
	;; [unrolled: 2-line block ×5, first 2 shown]
	v_mul_f64_e32 v[14:15], v[50:51], v[14:15]
	v_mul_f64_e32 v[18:19], v[57:58], v[18:19]
	;; [unrolled: 1-line block ×4, first 2 shown]
	s_wait_loadcnt_dscnt 0x300
	v_mul_f64_e32 v[95:96], v[79:80], v[34:35]
	v_mul_f64_e32 v[34:35], v[77:78], v[34:35]
	;; [unrolled: 1-line block ×3, first 2 shown]
	v_fma_f64 v[50:51], v[50:51], v[12:13], -v[81:82]
	v_fma_f64 v[57:58], v[57:58], v[16:17], -v[83:84]
	;; [unrolled: 1-line block ×4, first 2 shown]
	ds_load_b128 v[81:84], v52 offset:10816
	ds_load_b128 v[85:88], v52 offset:16224
	;; [unrolled: 1-line block ×3, first 2 shown]
	v_fma_f64 v[48:49], v[48:49], v[12:13], v[14:15]
	v_fma_f64 v[16:17], v[55:56], v[16:17], v[18:19]
	;; [unrolled: 1-line block ×4, first 2 shown]
	v_fma_f64 v[22:23], v[75:76], v[28:29], -v[93:94]
	v_fma_f64 v[24:25], v[77:78], v[32:33], v[95:96]
	v_fma_f64 v[26:27], v[79:80], v[32:33], -v[34:35]
	v_fma_f64 v[28:29], v[73:74], v[28:29], v[30:31]
	s_wait_loadcnt_dscnt 0x202
	v_mul_f64_e32 v[97:98], v[83:84], v[38:39]
	v_mul_f64_e32 v[38:39], v[81:82], v[38:39]
	s_wait_loadcnt_dscnt 0x101
	v_mul_f64_e32 v[99:100], v[87:88], v[42:43]
	s_wait_loadcnt_dscnt 0x0
	v_mul_f64_e32 v[101:102], v[91:92], v[46:47]
	v_mul_f64_e32 v[42:43], v[85:86], v[42:43]
	;; [unrolled: 1-line block ×3, first 2 shown]
	v_add_f64_e32 v[12:13], v[57:58], v[61:62]
	v_add_f64_e32 v[14:15], v[50:51], v[71:72]
	v_add_f64_e64 v[105:106], v[48:49], -v[16:17]
	v_add_f64_e32 v[30:31], v[16:17], v[18:19]
	v_add_f64_e64 v[55:56], v[16:17], -v[18:19]
	v_add_f64_e64 v[107:108], v[20:21], -v[18:19]
	;; [unrolled: 1-line block ×3, first 2 shown]
	v_fma_f64 v[32:33], v[81:82], v[36:37], v[97:98]
	v_fma_f64 v[34:35], v[83:84], v[36:37], -v[38:39]
	v_fma_f64 v[36:37], v[85:86], v[40:41], v[99:100]
	v_fma_f64 v[38:39], v[89:90], v[44:45], v[101:102]
	v_fma_f64 v[40:41], v[87:88], v[40:41], -v[42:43]
	v_fma_f64 v[42:43], v[91:92], v[44:45], -v[46:47]
	v_add_f64_e32 v[44:45], v[48:49], v[20:21]
	v_add_f64_e64 v[46:47], v[48:49], -v[20:21]
	v_add_f64_e64 v[81:82], v[50:51], -v[71:72]
	;; [unrolled: 1-line block ×7, first 2 shown]
	v_fma_f64 v[59:60], v[12:13], -0.5, v[22:23]
	v_fma_f64 v[69:70], v[14:15], -0.5, v[22:23]
	ds_load_b128 v[12:15], v52
	v_add_f64_e32 v[22:23], v[22:23], v[50:51]
	global_wb scope:SCOPE_SE
	s_wait_dscnt 0x0
	v_fma_f64 v[30:31], v[30:31], -0.5, v[28:29]
	s_barrier_signal -1
	s_barrier_wait -1
	global_inv scope:SCOPE_SE
	v_add_f64_e64 v[111:112], v[26:27], -v[34:35]
	v_add_f64_e32 v[73:74], v[32:33], v[36:37]
	v_add_f64_e32 v[75:76], v[24:25], v[38:39]
	;; [unrolled: 1-line block ×4, first 2 shown]
	v_fma_f64 v[44:45], v[44:45], -0.5, v[28:29]
	v_add_f64_e32 v[97:98], v[12:13], v[24:25]
	v_add_f64_e64 v[99:100], v[26:27], -v[42:43]
	v_add_f64_e64 v[101:102], v[34:35], -v[40:41]
	v_add_f64_e32 v[103:104], v[14:15], v[26:27]
	v_add_f64_e32 v[28:29], v[28:29], v[48:49]
	v_add_f64_e64 v[48:49], v[16:17], -v[48:49]
	v_add_f64_e64 v[113:114], v[42:43], -v[40:41]
	;; [unrolled: 1-line block ×4, first 2 shown]
	v_fma_f64 v[93:94], v[46:47], s[2:3], v[59:60]
	v_fma_f64 v[95:96], v[55:56], s[10:11], v[69:70]
	;; [unrolled: 1-line block ×4, first 2 shown]
	v_add_f64_e32 v[22:23], v[22:23], v[57:58]
	v_fma_f64 v[50:51], v[73:74], -0.5, v[12:13]
	v_add_f64_e64 v[73:74], v[24:25], -v[38:39]
	v_fma_f64 v[12:13], v[75:76], -0.5, v[12:13]
	v_add_f64_e64 v[75:76], v[32:33], -v[36:37]
	v_fma_f64 v[77:78], v[77:78], -0.5, v[14:15]
	v_fma_f64 v[14:15], v[79:80], -0.5, v[14:15]
	v_add_f64_e32 v[79:80], v[83:84], v[85:86]
	v_add_f64_e32 v[83:84], v[87:88], v[89:90]
	v_fma_f64 v[85:86], v[81:82], s[10:11], v[30:31]
	v_fma_f64 v[30:31], v[81:82], s[2:3], v[30:31]
	v_fma_f64 v[87:88], v[91:92], s[2:3], v[44:45]
	v_fma_f64 v[44:45], v[91:92], s[10:11], v[44:45]
	v_add_f64_e32 v[34:35], v[103:104], v[34:35]
	v_add_f64_e32 v[16:17], v[28:29], v[16:17]
	v_add_f64_e32 v[28:29], v[105:106], v[107:108]
	v_add_f64_e32 v[48:49], v[48:49], v[109:110]
	v_fma_f64 v[89:90], v[55:56], s[4:5], v[93:94]
	v_fma_f64 v[93:94], v[46:47], s[4:5], v[95:96]
	;; [unrolled: 1-line block ×4, first 2 shown]
	v_add_f64_e64 v[59:60], v[24:25], -v[32:33]
	v_add_f64_e64 v[69:70], v[38:39], -v[36:37]
	;; [unrolled: 1-line block ×4, first 2 shown]
	v_add_f64_e32 v[32:33], v[97:98], v[32:33]
	v_add_f64_e32 v[26:27], v[26:27], v[115:116]
	v_fma_f64 v[57:58], v[99:100], s[10:11], v[50:51]
	v_fma_f64 v[50:51], v[99:100], s[2:3], v[50:51]
	;; [unrolled: 1-line block ×12, first 2 shown]
	v_add_f64_e32 v[34:35], v[34:35], v[40:41]
	v_add_f64_e32 v[16:17], v[16:17], v[18:19]
	;; [unrolled: 1-line block ×3, first 2 shown]
	v_fma_f64 v[81:82], v[79:80], s[12:13], v[89:90]
	v_fma_f64 v[89:90], v[83:84], s[12:13], v[93:94]
	v_fma_f64 v[46:47], v[83:84], s[12:13], v[46:47]
	v_fma_f64 v[55:56], v[79:80], s[12:13], v[55:56]
	v_add_f64_e32 v[59:60], v[59:60], v[69:70]
	v_add_f64_e32 v[69:70], v[111:112], v[113:114]
	;; [unrolled: 1-line block ×4, first 2 shown]
	v_fma_f64 v[22:23], v[101:102], s[14:15], v[57:58]
	v_fma_f64 v[36:37], v[101:102], s[4:5], v[50:51]
	;; [unrolled: 1-line block ×12, first 2 shown]
	v_add_f64_e32 v[34:35], v[34:35], v[42:43]
	v_add_f64_e32 v[16:17], v[16:17], v[20:21]
	;; [unrolled: 1-line block ×3, first 2 shown]
	v_mul_f64_e32 v[48:49], s[14:15], v[81:82]
	v_mul_f64_e32 v[75:76], s[10:11], v[89:90]
	;; [unrolled: 1-line block ×6, first 2 shown]
	s_wait_alu 0xfffe
	v_mul_f64_e32 v[46:47], s[18:19], v[46:47]
	v_mul_f64_e32 v[55:56], s[20:21], v[55:56]
	v_add_f64_e32 v[32:33], v[32:33], v[38:39]
	v_fma_f64 v[38:39], v[59:60], s[12:13], v[22:23]
	v_fma_f64 v[59:60], v[59:60], s[12:13], v[36:37]
	;; [unrolled: 1-line block ×8, first 2 shown]
	v_add_f64_e32 v[14:15], v[34:35], v[18:19]
	v_add_f64_e64 v[26:27], v[34:35], -v[18:19]
	v_fma_f64 v[48:49], v[73:74], s[16:17], v[48:49]
	v_fma_f64 v[75:76], v[30:31], s[12:13], v[75:76]
	;; [unrolled: 1-line block ×8, first 2 shown]
	v_add_f64_e32 v[12:13], v[32:33], v[16:17]
	v_add_f64_e64 v[24:25], v[32:33], -v[16:17]
	v_add_f64_e32 v[16:17], v[38:39], v[48:49]
	v_add_f64_e32 v[20:21], v[36:37], v[75:76]
	;; [unrolled: 1-line block ×8, first 2 shown]
	v_add_f64_e64 v[32:33], v[38:39], -v[48:49]
	v_add_f64_e64 v[36:37], v[36:37], -v[75:76]
	;; [unrolled: 1-line block ×8, first 2 shown]
	ds_store_b128 v53, v[12:15]
	ds_store_b128 v53, v[16:19] offset:208
	ds_store_b128 v53, v[20:23] offset:416
	;; [unrolled: 1-line block ×9, first 2 shown]
	global_wb scope:SCOPE_SE
	s_wait_dscnt 0x0
	s_barrier_signal -1
	s_barrier_wait -1
	global_inv scope:SCOPE_SE
	s_and_saveexec_b32 s2, vcc_lo
	s_cbranch_execnz .LBB0_16
; %bb.14:
	s_wait_alu 0xfffe
	s_or_b32 exec_lo, exec_lo, s2
	s_and_saveexec_b32 s2, s33
	s_cbranch_execnz .LBB0_17
.LBB0_15:
	s_endpgm
.LBB0_16:
	ds_load_b128 v[12:15], v52
	ds_load_b128 v[16:19], v52 offset:2080
	ds_load_b128 v[20:23], v52 offset:4160
	;; [unrolled: 1-line block ×12, first 2 shown]
	s_wait_alu 0xfffe
	s_or_b32 exec_lo, exec_lo, s2
	s_and_saveexec_b32 s2, s33
	s_cbranch_execz .LBB0_15
.LBB0_17:
	v_mul_u32_u24_e32 v52, 12, v68
	s_mov_b32 s25, 0x3fddbe06
	s_mov_b32 s24, 0x4267c47c
	;; [unrolled: 1-line block ×4, first 2 shown]
	v_lshlrev_b32_e32 v52, 4, v52
	s_mov_b32 s18, 0x42a4c3d2
	s_mov_b32 s16, 0x24c2f84
	;; [unrolled: 1-line block ×4, first 2 shown]
	s_clause 0xb
	global_load_b128 v[69:72], v52, s[8:9] offset:1936
	global_load_b128 v[56:59], v52, s[8:9] offset:1920
	global_load_b128 v[60:63], v52, s[8:9] offset:2000
	global_load_b128 v[73:76], v52, s[8:9] offset:1904
	global_load_b128 v[77:80], v52, s[8:9] offset:2016
	global_load_b128 v[81:84], v52, s[8:9] offset:1872
	global_load_b128 v[85:88], v52, s[8:9] offset:1888
	global_load_b128 v[89:92], v52, s[8:9] offset:2032
	global_load_b128 v[93:96], v52, s[8:9] offset:2048
	global_load_b128 v[97:100], v52, s[8:9] offset:1984
	global_load_b128 v[101:104], v52, s[8:9] offset:1952
	global_load_b128 v[105:108], v52, s[8:9] offset:1968
	s_mov_b32 s21, 0xbfedeba7
	s_mov_b32 s19, 0x3fea55e2
	;; [unrolled: 1-line block ×6, first 2 shown]
	s_wait_alu 0xfffe
	s_mov_b32 s28, s18
	s_mov_b32 s36, s14
	;; [unrolled: 1-line block ×20, first 2 shown]
	s_wait_loadcnt_dscnt 0xb07
	v_mul_f64_e32 v[52:53], v[26:27], v[71:72]
	s_wait_loadcnt 0xa
	v_mul_f64_e32 v[54:55], v[42:43], v[58:59]
	s_wait_loadcnt_dscnt 0x903
	v_mul_f64_e32 v[109:110], v[50:51], v[62:63]
	v_mul_f64_e32 v[58:59], v[40:41], v[58:59]
	;; [unrolled: 1-line block ×3, first 2 shown]
	s_wait_loadcnt 0x6
	v_mul_f64_e32 v[115:116], v[16:17], v[83:84]
	v_mul_f64_e32 v[83:84], v[18:19], v[83:84]
	s_wait_dscnt 0x2
	v_mul_f64_e32 v[113:114], v[2:3], v[79:80]
	s_wait_loadcnt 0x5
	v_mul_f64_e32 v[117:118], v[22:23], v[87:88]
	s_wait_loadcnt_dscnt 0x401
	v_mul_f64_e32 v[119:120], v[6:7], v[91:92]
	s_wait_loadcnt_dscnt 0x300
	v_mul_f64_e32 v[121:122], v[10:11], v[95:96]
	v_mul_f64_e32 v[79:80], v[0:1], v[79:80]
	;; [unrolled: 1-line block ×4, first 2 shown]
	s_wait_loadcnt 0x2
	v_mul_f64_e32 v[123:124], v[46:47], v[99:100]
	v_mul_f64_e32 v[111:112], v[30:31], v[75:76]
	;; [unrolled: 1-line block ×6, first 2 shown]
	s_wait_loadcnt 0x1
	v_mul_f64_e32 v[125:126], v[34:35], v[103:104]
	s_wait_loadcnt 0x0
	v_mul_f64_e32 v[127:128], v[38:39], v[107:108]
	v_mul_f64_e32 v[103:104], v[32:33], v[103:104]
	;; [unrolled: 1-line block ×3, first 2 shown]
	v_fma_f64 v[52:53], v[24:25], v[69:70], v[52:53]
	v_fma_f64 v[54:55], v[40:41], v[56:57], v[54:55]
	;; [unrolled: 1-line block ×3, first 2 shown]
	v_fma_f64 v[48:49], v[42:43], v[56:57], -v[58:59]
	v_fma_f64 v[42:43], v[50:51], v[60:61], -v[62:63]
	;; [unrolled: 1-line block ×3, first 2 shown]
	v_fma_f64 v[60:61], v[16:17], v[81:82], v[83:84]
	v_fma_f64 v[24:25], v[0:1], v[77:78], v[113:114]
	;; [unrolled: 1-line block ×5, first 2 shown]
	v_fma_f64 v[8:9], v[2:3], v[77:78], -v[79:80]
	v_fma_f64 v[58:59], v[22:23], v[85:86], -v[87:88]
	;; [unrolled: 1-line block ×3, first 2 shown]
	v_fma_f64 v[10:11], v[44:45], v[97:98], v[123:124]
	v_fma_f64 v[50:51], v[28:29], v[73:74], v[111:112]
	v_fma_f64 v[30:31], v[30:31], v[73:74], -v[75:76]
	v_fma_f64 v[6:7], v[6:7], v[89:90], -v[91:92]
	;; [unrolled: 1-line block ×4, first 2 shown]
	v_fma_f64 v[22:23], v[32:33], v[101:102], v[125:126]
	v_fma_f64 v[18:19], v[36:37], v[105:106], v[127:128]
	v_fma_f64 v[26:27], v[34:35], v[101:102], -v[103:104]
	v_fma_f64 v[20:21], v[38:39], v[105:106], -v[107:108]
	v_add_f64_e64 v[46:47], v[54:55], -v[40:41]
	v_add_f64_e32 v[91:92], v[54:55], v[40:41]
	v_add_f64_e64 v[75:76], v[48:49], -v[42:43]
	v_add_f64_e32 v[44:45], v[14:15], v[62:63]
	v_add_f64_e32 v[77:78], v[12:13], v[60:61]
	;; [unrolled: 1-line block ×3, first 2 shown]
	v_add_f64_e64 v[71:72], v[56:57], -v[4:5]
	v_add_f64_e32 v[95:96], v[56:57], v[4:5]
	v_add_f64_e64 v[73:74], v[60:61], -v[0:1]
	v_add_f64_e32 v[60:61], v[60:61], v[0:1]
	v_add_f64_e64 v[83:84], v[62:63], -v[2:3]
	v_add_f64_e64 v[32:33], v[52:53], -v[10:11]
	;; [unrolled: 1-line block ×4, first 2 shown]
	v_add_f64_e32 v[87:88], v[30:31], v[8:9]
	v_add_f64_e32 v[93:94], v[50:51], v[24:25]
	v_add_f64_e64 v[81:82], v[58:59], -v[6:7]
	v_add_f64_e64 v[34:35], v[28:29], -v[16:17]
	;; [unrolled: 1-line block ×3, first 2 shown]
	v_add_f64_e32 v[89:90], v[58:59], v[6:7]
	v_add_f64_e64 v[38:39], v[26:27], -v[20:21]
	v_add_f64_e32 v[62:63], v[62:63], v[2:3]
	v_add_f64_e32 v[99:100], v[28:29], v[16:17]
	;; [unrolled: 1-line block ×5, first 2 shown]
	v_mul_f64_e32 v[149:150], s[24:25], v[46:47]
	s_wait_alu 0xfffe
	v_mul_f64_e32 v[119:120], s[30:31], v[46:47]
	v_mul_f64_e32 v[157:158], s[24:25], v[75:76]
	v_add_f64_e32 v[44:45], v[58:59], v[44:45]
	v_add_f64_e32 v[56:57], v[56:57], v[77:78]
	v_mul_f64_e32 v[129:130], s[30:31], v[75:76]
	v_mul_f64_e32 v[58:59], s[18:19], v[46:47]
	;; [unrolled: 1-line block ×36, first 2 shown]
	v_add_f64_e32 v[30:31], v[30:31], v[44:45]
	v_add_f64_e32 v[50:51], v[50:51], v[56:57]
	v_mul_f64_e32 v[44:45], s[24:25], v[38:39]
	s_mov_b32 s25, 0xbfddbe06
	v_mul_f64_e32 v[175:176], s[22:23], v[79:80]
	s_wait_alu 0xfffe
	v_mul_f64_e32 v[73:74], s[24:25], v[73:74]
	v_mul_f64_e32 v[83:84], s[24:25], v[83:84]
	v_fma_f64 v[191:192], v[62:63], s[26:27], v[109:110]
	v_fma_f64 v[109:110], v[62:63], s[26:27], -v[109:110]
	v_fma_f64 v[201:202], v[89:90], s[4:5], v[123:124]
	v_fma_f64 v[203:204], v[62:63], s[2:3], v[125:126]
	;; [unrolled: 1-line block ×4, first 2 shown]
	v_fma_f64 v[141:142], v[62:63], s[12:13], -v[141:142]
	v_fma_f64 v[217:218], v[62:63], s[4:5], v[155:156]
	v_fma_f64 v[155:156], v[62:63], s[4:5], -v[155:156]
	v_mul_f64_e32 v[46:47], s[20:21], v[46:47]
	v_fma_f64 v[221:222], v[62:63], s[8:9], v[171:172]
	v_fma_f64 v[223:224], v[60:61], s[8:9], -v[177:178]
	v_fma_f64 v[171:172], v[62:63], s[8:9], -v[171:172]
	v_fma_f64 v[177:178], v[60:61], s[8:9], v[177:178]
	v_mul_f64_e32 v[56:57], s[36:37], v[69:70]
	v_mul_f64_e32 v[69:70], s[28:29], v[71:72]
	v_mul_f64_e32 v[71:72], s[20:21], v[75:76]
	v_mul_f64_e32 v[75:76], s[36:37], v[79:80]
	v_mul_f64_e32 v[79:80], s[14:15], v[81:82]
	v_mul_f64_e32 v[179:180], s[34:35], v[81:82]
	v_mul_f64_e32 v[181:182], s[22:23], v[81:82]
	v_fma_f64 v[195:196], v[60:61], s[26:27], -v[115:116]
	v_fma_f64 v[205:206], v[91:92], s[26:27], -v[129:130]
	;; [unrolled: 1-line block ×5, first 2 shown]
	v_fma_f64 v[161:162], v[60:61], s[4:5], v[161:162]
	v_fma_f64 v[115:116], v[60:61], s[26:27], v[115:116]
	v_fma_f64 v[147:148], v[60:61], s[12:13], v[147:148]
	v_mul_f64_e32 v[81:82], s[28:29], v[81:82]
	v_fma_f64 v[185:186], v[85:86], s[8:9], v[58:59]
	v_add_f64_e32 v[30:31], v[48:49], v[30:31]
	v_add_f64_e32 v[50:51], v[54:55], v[50:51]
	v_fma_f64 v[48:49], v[87:88], s[8:9], -v[121:122]
	v_fma_f64 v[121:122], v[89:90], s[4:5], -v[123:124]
	;; [unrolled: 1-line block ×3, first 2 shown]
	v_fma_f64 v[245:246], v[62:63], s[10:11], v[73:74]
	v_fma_f64 v[62:63], v[62:63], s[10:11], -v[73:74]
	v_fma_f64 v[125:126], v[91:92], s[26:27], v[129:130]
	v_fma_f64 v[129:130], v[60:61], s[2:3], v[133:134]
	v_fma_f64 v[247:248], v[60:61], s[10:11], -v[83:84]
	v_fma_f64 v[60:61], v[60:61], s[10:11], v[83:84]
	v_add_f64_e32 v[191:192], v[14:15], v[191:192]
	v_add_f64_e32 v[109:110], v[14:15], v[109:110]
	;; [unrolled: 1-line block ×10, first 2 shown]
	v_fma_f64 v[187:188], v[87:88], s[2:3], v[105:106]
	v_fma_f64 v[189:190], v[89:90], s[10:11], v[107:108]
	v_fma_f64 v[193:194], v[91:92], s[8:9], -v[111:112]
	v_fma_f64 v[58:59], v[85:86], s[8:9], -v[58:59]
	v_fma_f64 v[105:106], v[87:88], s[2:3], -v[105:106]
	v_fma_f64 v[107:108], v[89:90], s[10:11], -v[107:108]
	v_fma_f64 v[111:112], v[91:92], s[8:9], v[111:112]
	v_fma_f64 v[197:198], v[85:86], s[26:27], v[119:120]
	v_fma_f64 v[119:120], v[85:86], s[26:27], -v[119:120]
	v_fma_f64 v[54:55], v[85:86], s[4:5], v[135:136]
	v_fma_f64 v[133:134], v[87:88], s[10:11], v[137:138]
	;; [unrolled: 1-line block ×3, first 2 shown]
	v_fma_f64 v[213:214], v[91:92], s[4:5], -v[143:144]
	v_fma_f64 v[135:136], v[85:86], s[4:5], -v[135:136]
	;; [unrolled: 1-line block ×4, first 2 shown]
	v_fma_f64 v[143:144], v[91:92], s[4:5], v[143:144]
	v_add_f64_e32 v[28:29], v[28:29], v[30:31]
	v_add_f64_e32 v[50:51], v[52:53], v[50:51]
	v_fma_f64 v[52:53], v[89:90], s[12:13], -v[169:170]
	v_fma_f64 v[225:226], v[85:86], s[10:11], v[149:150]
	v_add_f64_e32 v[123:124], v[14:15], v[123:124]
	v_add_f64_e32 v[245:246], v[14:15], v[245:246]
	;; [unrolled: 1-line block ×3, first 2 shown]
	v_fma_f64 v[62:63], v[95:96], s[12:13], v[183:184]
	v_fma_f64 v[227:228], v[87:88], s[12:13], v[151:152]
	;; [unrolled: 1-line block ×3, first 2 shown]
	v_fma_f64 v[231:232], v[91:92], s[10:11], -v[157:158]
	v_fma_f64 v[149:150], v[85:86], s[10:11], -v[149:150]
	;; [unrolled: 1-line block ×4, first 2 shown]
	v_fma_f64 v[157:158], v[91:92], s[10:11], v[157:158]
	v_fma_f64 v[233:234], v[85:86], s[2:3], v[165:166]
	v_fma_f64 v[165:166], v[85:86], s[2:3], -v[165:166]
	v_fma_f64 v[235:236], v[85:86], s[12:13], v[46:47]
	v_fma_f64 v[30:31], v[85:86], s[12:13], -v[46:47]
	v_fma_f64 v[46:47], v[87:88], s[26:27], v[167:168]
	v_fma_f64 v[85:86], v[89:90], s[12:13], v[169:170]
	v_fma_f64 v[237:238], v[91:92], s[2:3], -v[173:174]
	v_fma_f64 v[167:168], v[87:88], s[26:27], -v[167:168]
	v_fma_f64 v[169:170], v[91:92], s[2:3], v[173:174]
	v_fma_f64 v[173:174], v[87:88], s[4:5], v[56:57]
	v_fma_f64 v[56:57], v[87:88], s[4:5], -v[56:57]
	v_fma_f64 v[87:88], v[89:90], s[8:9], v[69:70]
	v_fma_f64 v[69:70], v[89:90], s[8:9], -v[69:70]
	v_fma_f64 v[89:90], v[91:92], s[12:13], -v[71:72]
	v_fma_f64 v[71:72], v[91:92], s[12:13], v[71:72]
	v_fma_f64 v[91:92], v[93:94], s[2:3], -v[77:78]
	v_fma_f64 v[77:78], v[93:94], s[2:3], v[77:78]
	;; [unrolled: 2-line block ×5, first 2 shown]
	v_add_f64_e32 v[26:27], v[26:27], v[28:29]
	v_add_f64_e32 v[22:23], v[22:23], v[50:51]
	v_fma_f64 v[73:74], v[93:94], s[26:27], -v[175:176]
	v_fma_f64 v[83:84], v[93:94], s[26:27], v[175:176]
	v_fma_f64 v[175:176], v[93:94], s[4:5], -v[75:76]
	v_fma_f64 v[75:76], v[93:94], s[4:5], v[75:76]
	v_fma_f64 v[93:94], v[95:96], s[10:11], -v[113:114]
	v_add_f64_e32 v[195:196], v[12:13], v[195:196]
	v_fma_f64 v[249:250], v[95:96], s[4:5], -v[79:80]
	v_fma_f64 v[79:80], v[95:96], s[4:5], v[79:80]
	v_fma_f64 v[28:29], v[95:96], s[2:3], -v[179:180]
	v_add_f64_e32 v[207:208], v[12:13], v[207:208]
	v_fma_f64 v[50:51], v[95:96], s[26:27], -v[181:182]
	v_fma_f64 v[181:182], v[95:96], s[26:27], v[181:182]
	v_add_f64_e32 v[129:130], v[12:13], v[129:130]
	v_add_f64_e32 v[215:216], v[12:13], v[215:216]
	;; [unrolled: 1-line block ×3, first 2 shown]
	v_fma_f64 v[113:114], v[95:96], s[10:11], v[113:114]
	v_add_f64_e32 v[115:116], v[12:13], v[115:116]
	v_fma_f64 v[179:180], v[95:96], s[2:3], v[179:180]
	v_add_f64_e32 v[147:148], v[12:13], v[147:148]
	v_add_f64_e32 v[219:220], v[12:13], v[219:220]
	;; [unrolled: 1-line block ×5, first 2 shown]
	v_fma_f64 v[60:61], v[95:96], s[12:13], -v[183:184]
	v_fma_f64 v[183:184], v[95:96], s[8:9], -v[81:82]
	v_fma_f64 v[81:82], v[95:96], s[8:9], v[81:82]
	v_add_f64_e32 v[52:53], v[52:53], v[171:172]
	v_add_f64_e32 v[62:63], v[62:63], v[177:178]
	;; [unrolled: 1-line block ×15, first 2 shown]
	v_mul_f64_e32 v[141:142], s[28:29], v[34:35]
	v_mul_f64_e32 v[229:230], s[14:15], v[34:35]
	v_add_f64_e32 v[93:94], v[93:94], v[195:196]
	v_mul_f64_e32 v[191:192], s[20:21], v[32:33]
	v_mul_f64_e32 v[109:110], s[20:21], v[34:35]
	v_mul_f64_e32 v[203:204], s[20:21], v[38:39]
	v_add_f64_e32 v[207:208], v[249:250], v[207:208]
	v_mul_f64_e32 v[123:124], s[30:31], v[32:33]
	v_mul_f64_e32 v[26:27], s[30:31], v[34:35]
	v_add_f64_e32 v[79:80], v[79:80], v[129:130]
	v_add_f64_e32 v[28:29], v[28:29], v[215:216]
	;; [unrolled: 1-line block ×3, first 2 shown]
	v_mul_f64_e32 v[211:212], s[28:29], v[32:33]
	v_add_f64_e32 v[113:114], v[113:114], v[115:116]
	v_mul_f64_e32 v[115:116], s[20:21], v[36:37]
	v_add_f64_e32 v[147:148], v[179:180], v[147:148]
	v_add_f64_e32 v[50:51], v[50:51], v[219:220]
	v_mul_f64_e32 v[179:180], s[14:15], v[32:33]
	v_mul_f64_e32 v[32:33], s[16:17], v[32:33]
	;; [unrolled: 1-line block ×3, first 2 shown]
	v_add_f64_e32 v[60:61], v[60:61], v[223:224]
	v_mul_f64_e32 v[95:96], s[14:15], v[36:37]
	v_add_f64_e32 v[12:13], v[81:82], v[12:13]
	v_add_f64_e32 v[52:53], v[167:168], v[52:53]
	;; [unrolled: 1-line block ×4, first 2 shown]
	v_mul_f64_e32 v[129:130], s[18:19], v[38:39]
	v_add_f64_e32 v[48:49], v[48:49], v[121:122]
	v_mul_f64_e32 v[22:23], s[16:17], v[36:37]
	v_mul_f64_e32 v[215:216], s[16:17], v[38:39]
	v_fma_f64 v[221:222], v[99:100], s[10:11], v[117:118]
	v_add_f64_e32 v[121:122], v[137:138], v[139:140]
	v_add_f64_e32 v[137:138], v[227:228], v[217:218]
	;; [unrolled: 1-line block ×7, first 2 shown]
	v_fma_f64 v[245:246], v[103:104], s[10:11], -v[127:128]
	v_fma_f64 v[69:70], v[99:100], s[10:11], -v[117:118]
	v_add_f64_e32 v[91:92], v[91:92], v[93:94]
	v_add_f64_e32 v[93:94], v[105:106], v[107:108]
	;; [unrolled: 1-line block ×3, first 2 shown]
	v_fma_f64 v[155:156], v[99:100], s[12:13], v[191:192]
	v_add_f64_e32 v[107:108], v[239:240], v[207:208]
	v_fma_f64 v[171:172], v[103:104], s[12:13], -v[109:110]
	v_fma_f64 v[191:192], v[99:100], s[12:13], -v[191:192]
	v_add_f64_e32 v[79:80], v[131:132], v[79:80]
	v_add_f64_e32 v[28:29], v[241:242], v[28:29]
	;; [unrolled: 1-line block ×8, first 2 shown]
	v_fma_f64 v[139:140], v[99:100], s[4:5], -v[179:180]
	v_fma_f64 v[109:110], v[103:104], s[12:13], v[109:110]
	v_fma_f64 v[177:178], v[97:98], s[12:13], v[115:116]
	v_add_f64_e32 v[60:61], v[73:74], v[60:61]
	v_add_f64_e32 v[73:74], v[173:174], v[87:88]
	;; [unrolled: 1-line block ×3, first 2 shown]
	v_fma_f64 v[75:76], v[103:104], s[8:9], v[141:142]
	v_add_f64_e32 v[52:53], v[165:166], v[52:53]
	v_add_f64_e32 v[62:63], v[169:170], v[62:63]
	v_fma_f64 v[223:224], v[101:102], s[12:13], -v[203:204]
	v_fma_f64 v[20:21], v[97:98], s[12:13], -v[115:116]
	v_fma_f64 v[81:82], v[101:102], s[12:13], v[203:204]
	v_fma_f64 v[115:116], v[103:104], s[10:11], v[127:128]
	;; [unrolled: 1-line block ×3, first 2 shown]
	v_fma_f64 v[203:204], v[103:104], s[26:27], -v[26:27]
	v_fma_f64 v[123:124], v[99:100], s[26:27], -v[123:124]
	v_add_f64_e32 v[16:17], v[42:43], v[16:17]
	v_add_f64_e32 v[10:11], v[40:41], v[10:11]
	;; [unrolled: 1-line block ×3, first 2 shown]
	v_fma_f64 v[42:43], v[103:104], s[8:9], -v[141:142]
	v_fma_f64 v[141:142], v[103:104], s[4:5], v[229:230]
	v_fma_f64 v[26:27], v[103:104], s[26:27], v[26:27]
	v_fma_f64 v[40:41], v[99:100], s[8:9], v[211:212]
	v_fma_f64 v[56:57], v[99:100], s[8:9], -v[211:212]
	v_fma_f64 v[85:86], v[99:100], s[4:5], v[179:180]
	v_fma_f64 v[87:88], v[103:104], s[4:5], -v[229:230]
	v_fma_f64 v[145:146], v[99:100], s[2:3], v[32:33]
	v_fma_f64 v[147:148], v[103:104], s[2:3], -v[34:35]
	v_fma_f64 v[32:33], v[99:100], s[2:3], -v[32:33]
	v_fma_f64 v[34:35], v[103:104], s[2:3], v[34:35]
	v_add_f64_e32 v[99:100], v[185:186], v[187:188]
	v_add_f64_e32 v[58:59], v[58:59], v[93:94]
	v_add_f64_e32 v[103:104], v[205:206], v[107:108]
	v_add_f64_e32 v[48:49], v[119:120], v[48:49]
	v_add_f64_e32 v[28:29], v[213:214], v[28:29]
	v_add_f64_e32 v[107:108], v[149:150], v[131:132]
	v_add_f64_e32 v[83:84], v[157:158], v[83:84]
	v_mul_f64_e32 v[249:250], s[18:19], v[36:37]
	v_mul_f64_e32 v[36:37], s[22:23], v[36:37]
	v_add_f64_e32 v[77:78], v[111:112], v[77:78]
	v_add_f64_e32 v[93:94], v[197:198], v[105:106]
	;; [unrolled: 1-line block ×5, first 2 shown]
	v_mul_f64_e32 v[195:196], s[14:15], v[38:39]
	v_add_f64_e32 v[91:92], v[193:194], v[91:92]
	v_mul_f64_e32 v[38:39], s[22:23], v[38:39]
	v_add_f64_e32 v[54:55], v[54:55], v[113:114]
	v_add_f64_e32 v[113:114], v[225:226], v[137:138]
	;; [unrolled: 1-line block ×11, first 2 shown]
	v_fma_f64 v[125:126], v[101:102], s[10:11], -v[44:45]
	v_fma_f64 v[131:132], v[97:98], s[10:11], -v[163:164]
	v_fma_f64 v[44:45], v[101:102], s[10:11], v[44:45]
	v_add_f64_e32 v[52:53], v[139:140], v[52:53]
	v_add_f64_e32 v[62:63], v[141:142], v[62:63]
	v_fma_f64 v[219:220], v[97:98], s[4:5], v[95:96]
	v_fma_f64 v[95:96], v[97:98], s[4:5], -v[95:96]
	v_fma_f64 v[183:184], v[101:102], s[8:9], -v[129:130]
	v_fma_f64 v[24:25], v[97:98], s[2:3], -v[22:23]
	v_fma_f64 v[119:120], v[101:102], s[2:3], v[215:216]
	v_add_f64_e32 v[18:19], v[155:156], v[99:100]
	v_add_f64_e32 v[30:31], v[191:192], v[58:59]
	v_fma_f64 v[129:130], v[101:102], s[8:9], v[129:130]
	v_add_f64_e32 v[48:49], v[69:70], v[48:49]
	v_add_f64_e32 v[28:29], v[203:204], v[28:29]
	;; [unrolled: 1-line block ×4, first 2 shown]
	v_fma_f64 v[117:118], v[97:98], s[8:9], v[249:250]
	v_fma_f64 v[247:248], v[97:98], s[8:9], -v[249:250]
	v_fma_f64 v[71:72], v[97:98], s[2:3], v[22:23]
	v_fma_f64 v[121:122], v[97:98], s[10:11], v[163:164]
	;; [unrolled: 1-line block ×3, first 2 shown]
	v_fma_f64 v[97:98], v[97:98], s[26:27], -v[36:37]
	v_add_f64_e32 v[36:37], v[109:110], v[77:78]
	v_add_f64_e32 v[69:70], v[115:116], v[79:80]
	;; [unrolled: 1-line block ×4, first 2 shown]
	v_fma_f64 v[181:182], v[101:102], s[4:5], -v[195:196]
	v_fma_f64 v[195:196], v[101:102], s[4:5], v[195:196]
	v_add_f64_e32 v[22:23], v[171:172], v[91:92]
	v_fma_f64 v[89:90], v[101:102], s[2:3], -v[215:216]
	v_fma_f64 v[135:136], v[101:102], s[26:27], -v[38:39]
	v_fma_f64 v[101:102], v[101:102], s[26:27], v[38:39]
	v_add_f64_e32 v[38:39], v[221:222], v[93:94]
	v_add_f64_e32 v[58:59], v[245:246], v[103:104]
	;; [unrolled: 1-line block ×13, first 2 shown]
	v_mul_lo_u32 v4, s1, v66
	v_mul_lo_u32 v5, s0, v67
	v_mad_co_u64_u32 v[66:67], null, s0, v66, 0
	v_add_f64_e32 v[34:35], v[131:132], v[52:53]
	v_add_f64_e32 v[32:33], v[44:45], v[62:63]
	;; [unrolled: 1-line block ×8, first 2 shown]
	v_add3_u32 v67, v67, v5, v4
	v_add_f64_e32 v[16:17], v[81:82], v[69:70]
	v_mov_b32_e32 v69, 0
	v_add_f64_e32 v[26:27], v[247:248], v[77:78]
	v_add_f64_e32 v[24:25], v[129:130], v[79:80]
	v_add_f64_e32 v[8:9], v[195:196], v[36:37]
	v_add_f64_e32 v[4:5], v[181:182], v[22:23]
	v_lshlrev_b64_e32 v[52:53], 4, v[66:67]
	v_add_f64_e32 v[14:15], v[177:178], v[38:39]
	v_add_f64_e32 v[12:13], v[223:224], v[58:59]
	;; [unrolled: 1-line block ×13, first 2 shown]
	v_lshlrev_b64_e32 v[54:55], 4, v[64:65]
	v_add_co_u32 v56, vcc_lo, s6, v52
	s_wait_alu 0xfffd
	v_add_co_ci_u32_e32 v57, vcc_lo, s7, v53, vcc_lo
	v_lshlrev_b64_e32 v[52:53], 4, v[68:69]
	s_delay_alu instid0(VALU_DEP_3) | instskip(SKIP_1) | instid1(VALU_DEP_3)
	v_add_co_u32 v54, vcc_lo, v56, v54
	s_wait_alu 0xfffd
	v_add_co_ci_u32_e32 v55, vcc_lo, v57, v55, vcc_lo
	s_delay_alu instid0(VALU_DEP_2) | instskip(SKIP_1) | instid1(VALU_DEP_2)
	v_add_co_u32 v52, vcc_lo, v54, v52
	s_wait_alu 0xfffd
	v_add_co_ci_u32_e32 v53, vcc_lo, v55, v53, vcc_lo
	s_clause 0xc
	global_store_b128 v[52:53], v[32:35], off offset:4160
	global_store_b128 v[52:53], v[28:31], off offset:6240
	;; [unrolled: 1-line block ×11, first 2 shown]
	global_store_b128 v[52:53], v[0:3], off
	global_store_b128 v[52:53], v[44:47], off offset:24960
	s_nop 0
	s_sendmsg sendmsg(MSG_DEALLOC_VGPRS)
	s_endpgm
	.section	.rodata,"a",@progbits
	.p2align	6, 0x0
	.amdhsa_kernel fft_rtc_back_len1690_factors_13_10_13_wgs_169_tpt_169_dp_op_CI_CI_unitstride_sbrr_dirReg
		.amdhsa_group_segment_fixed_size 0
		.amdhsa_private_segment_fixed_size 0
		.amdhsa_kernarg_size 104
		.amdhsa_user_sgpr_count 2
		.amdhsa_user_sgpr_dispatch_ptr 0
		.amdhsa_user_sgpr_queue_ptr 0
		.amdhsa_user_sgpr_kernarg_segment_ptr 1
		.amdhsa_user_sgpr_dispatch_id 0
		.amdhsa_user_sgpr_private_segment_size 0
		.amdhsa_wavefront_size32 1
		.amdhsa_uses_dynamic_stack 0
		.amdhsa_enable_private_segment 0
		.amdhsa_system_sgpr_workgroup_id_x 1
		.amdhsa_system_sgpr_workgroup_id_y 0
		.amdhsa_system_sgpr_workgroup_id_z 0
		.amdhsa_system_sgpr_workgroup_info 0
		.amdhsa_system_vgpr_workitem_id 0
		.amdhsa_next_free_vgpr 255
		.amdhsa_next_free_sgpr 45
		.amdhsa_reserve_vcc 1
		.amdhsa_float_round_mode_32 0
		.amdhsa_float_round_mode_16_64 0
		.amdhsa_float_denorm_mode_32 3
		.amdhsa_float_denorm_mode_16_64 3
		.amdhsa_fp16_overflow 0
		.amdhsa_workgroup_processor_mode 1
		.amdhsa_memory_ordered 1
		.amdhsa_forward_progress 0
		.amdhsa_round_robin_scheduling 0
		.amdhsa_exception_fp_ieee_invalid_op 0
		.amdhsa_exception_fp_denorm_src 0
		.amdhsa_exception_fp_ieee_div_zero 0
		.amdhsa_exception_fp_ieee_overflow 0
		.amdhsa_exception_fp_ieee_underflow 0
		.amdhsa_exception_fp_ieee_inexact 0
		.amdhsa_exception_int_div_zero 0
	.end_amdhsa_kernel
	.text
.Lfunc_end0:
	.size	fft_rtc_back_len1690_factors_13_10_13_wgs_169_tpt_169_dp_op_CI_CI_unitstride_sbrr_dirReg, .Lfunc_end0-fft_rtc_back_len1690_factors_13_10_13_wgs_169_tpt_169_dp_op_CI_CI_unitstride_sbrr_dirReg
                                        ; -- End function
	.section	.AMDGPU.csdata,"",@progbits
; Kernel info:
; codeLenInByte = 9656
; NumSgprs: 47
; NumVgprs: 255
; ScratchSize: 0
; MemoryBound: 1
; FloatMode: 240
; IeeeMode: 1
; LDSByteSize: 0 bytes/workgroup (compile time only)
; SGPRBlocks: 5
; VGPRBlocks: 31
; NumSGPRsForWavesPerEU: 47
; NumVGPRsForWavesPerEU: 255
; Occupancy: 5
; WaveLimiterHint : 1
; COMPUTE_PGM_RSRC2:SCRATCH_EN: 0
; COMPUTE_PGM_RSRC2:USER_SGPR: 2
; COMPUTE_PGM_RSRC2:TRAP_HANDLER: 0
; COMPUTE_PGM_RSRC2:TGID_X_EN: 1
; COMPUTE_PGM_RSRC2:TGID_Y_EN: 0
; COMPUTE_PGM_RSRC2:TGID_Z_EN: 0
; COMPUTE_PGM_RSRC2:TIDIG_COMP_CNT: 0
	.text
	.p2alignl 7, 3214868480
	.fill 96, 4, 3214868480
	.type	__hip_cuid_4f688eb05e5fcadb,@object ; @__hip_cuid_4f688eb05e5fcadb
	.section	.bss,"aw",@nobits
	.globl	__hip_cuid_4f688eb05e5fcadb
__hip_cuid_4f688eb05e5fcadb:
	.byte	0                               ; 0x0
	.size	__hip_cuid_4f688eb05e5fcadb, 1

	.ident	"AMD clang version 19.0.0git (https://github.com/RadeonOpenCompute/llvm-project roc-6.4.0 25133 c7fe45cf4b819c5991fe208aaa96edf142730f1d)"
	.section	".note.GNU-stack","",@progbits
	.addrsig
	.addrsig_sym __hip_cuid_4f688eb05e5fcadb
	.amdgpu_metadata
---
amdhsa.kernels:
  - .args:
      - .actual_access:  read_only
        .address_space:  global
        .offset:         0
        .size:           8
        .value_kind:     global_buffer
      - .offset:         8
        .size:           8
        .value_kind:     by_value
      - .actual_access:  read_only
        .address_space:  global
        .offset:         16
        .size:           8
        .value_kind:     global_buffer
      - .actual_access:  read_only
        .address_space:  global
        .offset:         24
        .size:           8
        .value_kind:     global_buffer
      - .actual_access:  read_only
        .address_space:  global
        .offset:         32
        .size:           8
        .value_kind:     global_buffer
      - .offset:         40
        .size:           8
        .value_kind:     by_value
      - .actual_access:  read_only
        .address_space:  global
        .offset:         48
        .size:           8
        .value_kind:     global_buffer
      - .actual_access:  read_only
        .address_space:  global
        .offset:         56
        .size:           8
        .value_kind:     global_buffer
      - .offset:         64
        .size:           4
        .value_kind:     by_value
      - .actual_access:  read_only
        .address_space:  global
        .offset:         72
        .size:           8
        .value_kind:     global_buffer
      - .actual_access:  read_only
        .address_space:  global
        .offset:         80
        .size:           8
        .value_kind:     global_buffer
      - .actual_access:  read_only
        .address_space:  global
        .offset:         88
        .size:           8
        .value_kind:     global_buffer
      - .actual_access:  write_only
        .address_space:  global
        .offset:         96
        .size:           8
        .value_kind:     global_buffer
    .group_segment_fixed_size: 0
    .kernarg_segment_align: 8
    .kernarg_segment_size: 104
    .language:       OpenCL C
    .language_version:
      - 2
      - 0
    .max_flat_workgroup_size: 169
    .name:           fft_rtc_back_len1690_factors_13_10_13_wgs_169_tpt_169_dp_op_CI_CI_unitstride_sbrr_dirReg
    .private_segment_fixed_size: 0
    .sgpr_count:     47
    .sgpr_spill_count: 0
    .symbol:         fft_rtc_back_len1690_factors_13_10_13_wgs_169_tpt_169_dp_op_CI_CI_unitstride_sbrr_dirReg.kd
    .uniform_work_group_size: 1
    .uses_dynamic_stack: false
    .vgpr_count:     255
    .vgpr_spill_count: 0
    .wavefront_size: 32
    .workgroup_processor_mode: 1
amdhsa.target:   amdgcn-amd-amdhsa--gfx1201
amdhsa.version:
  - 1
  - 2
...

	.end_amdgpu_metadata
